;; amdgpu-corpus repo=ggml-org/llama.cpp kind=compiled arch=gfx1100 opt=O3
	.text
	.amdgcn_target "amdgcn-amd-amdhsa--gfx1100"
	.amdhsa_code_object_version 6
	.section	.text._ZL13roll_f32_cudaPKfPflllliiii,"axG",@progbits,_ZL13roll_f32_cudaPKfPflllliiii,comdat
	.globl	_ZL13roll_f32_cudaPKfPflllliiii ; -- Begin function _ZL13roll_f32_cudaPKfPflllliiii
	.p2align	8
	.type	_ZL13roll_f32_cudaPKfPflllliiii,@function
_ZL13roll_f32_cudaPKfPflllliiii:        ; @_ZL13roll_f32_cudaPKfPflllliiii
; %bb.0:
	s_clause 0x1
	s_load_b32 s2, s[0:1], 0x4c
	s_load_b256 s[4:11], s[0:1], 0x10
	v_mov_b32_e32 v4, 0
	s_delay_alu instid0(VALU_DEP_1)
	v_mov_b32_e32 v1, v4
	s_waitcnt lgkmcnt(0)
	s_and_b32 s2, s2, 0xffff
	s_mul_i32 s3, s6, s5
	s_mul_hi_u32 s12, s6, s4
	s_mul_i32 s13, s7, s4
	s_mul_i32 s16, s6, s4
	s_add_i32 s17, s12, s3
	v_mad_u64_u32 v[2:3], null, s2, s15, v[0:1]
	s_mul_i32 s2, s16, s9
	s_mul_hi_u32 s3, s16, s8
	s_add_i32 s17, s17, s13
	s_mul_i32 s18, s16, s8
	s_add_i32 s19, s3, s2
	s_mul_i32 s3, s17, s8
	s_mul_i32 s2, s18, s11
	s_mul_hi_u32 s12, s18, s10
	s_add_i32 s19, s19, s3
	s_add_i32 s2, s12, s2
	s_mul_i32 s3, s19, s10
	s_delay_alu instid0(SALU_CYCLE_1) | instskip(SKIP_1) | instid1(SALU_CYCLE_1)
	s_add_i32 s3, s2, s3
	s_mul_i32 s2, s18, s10
	v_cmp_gt_i64_e32 vcc_lo, s[2:3], v[2:3]
	s_and_saveexec_b32 s2, vcc_lo
	s_cbranch_execz .LBB0_42
; %bb.1:
	v_or_b32_e32 v5, s5, v3
	s_delay_alu instid0(VALU_DEP_1) | instskip(SKIP_1) | instid1(SALU_CYCLE_1)
	v_cmp_ne_u64_e32 vcc_lo, 0, v[4:5]
                                        ; implicit-def: $vgpr4_vgpr5
	s_and_saveexec_b32 s2, vcc_lo
	s_xor_b32 s3, exec_lo, s2
	s_cbranch_execz .LBB0_3
; %bb.2:
	s_ashr_i32 s12, s5, 31
	s_delay_alu instid0(SALU_CYCLE_1) | instskip(SKIP_2) | instid1(SALU_CYCLE_1)
	s_add_u32 s14, s4, s12
	s_mov_b32 s13, s12
	s_addc_u32 s15, s5, s12
	s_xor_b64 s[14:15], s[14:15], s[12:13]
	s_delay_alu instid0(SALU_CYCLE_1) | instskip(SKIP_3) | instid1(VALU_DEP_1)
	v_cvt_f32_u32_e32 v0, s14
	v_cvt_f32_u32_e32 v1, s15
	s_sub_u32 s2, 0, s14
	s_subb_u32 s13, 0, s15
	v_fmamk_f32 v0, v1, 0x4f800000, v0
	s_delay_alu instid0(VALU_DEP_1) | instskip(SKIP_2) | instid1(VALU_DEP_1)
	v_rcp_f32_e32 v0, v0
	s_waitcnt_depctr 0xfff
	v_mul_f32_e32 v0, 0x5f7ffffc, v0
	v_mul_f32_e32 v1, 0x2f800000, v0
	s_delay_alu instid0(VALU_DEP_1) | instskip(NEXT) | instid1(VALU_DEP_1)
	v_trunc_f32_e32 v1, v1
	v_fmamk_f32 v0, v1, 0xcf800000, v0
	v_cvt_u32_f32_e32 v1, v1
	s_delay_alu instid0(VALU_DEP_2) | instskip(NEXT) | instid1(VALU_DEP_2)
	v_cvt_u32_f32_e32 v0, v0
	v_mul_lo_u32 v4, s2, v1
	s_delay_alu instid0(VALU_DEP_2) | instskip(SKIP_1) | instid1(VALU_DEP_2)
	v_mul_hi_u32 v5, s2, v0
	v_mul_lo_u32 v6, s13, v0
	v_add_nc_u32_e32 v4, v5, v4
	v_mul_lo_u32 v5, s2, v0
	s_delay_alu instid0(VALU_DEP_2) | instskip(NEXT) | instid1(VALU_DEP_2)
	v_add_nc_u32_e32 v4, v4, v6
	v_mul_hi_u32 v6, v0, v5
	s_delay_alu instid0(VALU_DEP_2)
	v_mul_lo_u32 v7, v0, v4
	v_mul_hi_u32 v8, v0, v4
	v_mul_hi_u32 v9, v1, v5
	v_mul_lo_u32 v5, v1, v5
	v_mul_hi_u32 v10, v1, v4
	v_mul_lo_u32 v4, v1, v4
	v_add_co_u32 v6, vcc_lo, v6, v7
	v_add_co_ci_u32_e32 v7, vcc_lo, 0, v8, vcc_lo
	s_delay_alu instid0(VALU_DEP_2) | instskip(NEXT) | instid1(VALU_DEP_2)
	v_add_co_u32 v5, vcc_lo, v6, v5
	v_add_co_ci_u32_e32 v5, vcc_lo, v7, v9, vcc_lo
	v_add_co_ci_u32_e32 v6, vcc_lo, 0, v10, vcc_lo
	v_ashrrev_i32_e32 v9, 31, v3
	s_delay_alu instid0(VALU_DEP_3) | instskip(NEXT) | instid1(VALU_DEP_3)
	v_add_co_u32 v4, vcc_lo, v5, v4
	v_add_co_ci_u32_e32 v5, vcc_lo, 0, v6, vcc_lo
	s_delay_alu instid0(VALU_DEP_2) | instskip(NEXT) | instid1(VALU_DEP_2)
	v_add_co_u32 v0, vcc_lo, v0, v4
	v_add_co_ci_u32_e32 v1, vcc_lo, v1, v5, vcc_lo
	s_delay_alu instid0(VALU_DEP_2) | instskip(SKIP_1) | instid1(VALU_DEP_3)
	v_mul_hi_u32 v4, s2, v0
	v_mul_lo_u32 v6, s13, v0
	v_mul_lo_u32 v5, s2, v1
	s_delay_alu instid0(VALU_DEP_1) | instskip(SKIP_1) | instid1(VALU_DEP_2)
	v_add_nc_u32_e32 v4, v4, v5
	v_mul_lo_u32 v5, s2, v0
	v_add_nc_u32_e32 v4, v4, v6
	s_delay_alu instid0(VALU_DEP_2) | instskip(NEXT) | instid1(VALU_DEP_2)
	v_mul_hi_u32 v6, v0, v5
	v_mul_lo_u32 v7, v0, v4
	v_mul_hi_u32 v8, v0, v4
	v_mul_hi_u32 v10, v1, v5
	v_mul_lo_u32 v5, v1, v5
	v_mul_hi_u32 v11, v1, v4
	v_mul_lo_u32 v4, v1, v4
	v_add_co_u32 v6, vcc_lo, v6, v7
	v_add_co_ci_u32_e32 v7, vcc_lo, 0, v8, vcc_lo
	s_delay_alu instid0(VALU_DEP_2) | instskip(NEXT) | instid1(VALU_DEP_2)
	v_add_co_u32 v5, vcc_lo, v6, v5
	v_add_co_ci_u32_e32 v5, vcc_lo, v7, v10, vcc_lo
	v_add_co_ci_u32_e32 v6, vcc_lo, 0, v11, vcc_lo
	v_add_co_u32 v7, vcc_lo, v2, v9
	v_add_co_ci_u32_e32 v8, vcc_lo, v3, v9, vcc_lo
	s_delay_alu instid0(VALU_DEP_4) | instskip(NEXT) | instid1(VALU_DEP_4)
	v_add_co_u32 v4, vcc_lo, v5, v4
	v_add_co_ci_u32_e32 v5, vcc_lo, 0, v6, vcc_lo
	s_delay_alu instid0(VALU_DEP_4) | instskip(NEXT) | instid1(VALU_DEP_3)
	v_xor_b32_e32 v10, v7, v9
	v_add_co_u32 v6, vcc_lo, v0, v4
	s_delay_alu instid0(VALU_DEP_3) | instskip(SKIP_1) | instid1(VALU_DEP_3)
	v_add_co_ci_u32_e32 v11, vcc_lo, v1, v5, vcc_lo
	v_xor_b32_e32 v8, v8, v9
	v_mul_hi_u32 v12, v10, v6
	s_delay_alu instid0(VALU_DEP_3) | instskip(NEXT) | instid1(VALU_DEP_3)
	v_mad_u64_u32 v[0:1], null, v10, v11, 0
	v_mad_u64_u32 v[4:5], null, v8, v6, 0
	;; [unrolled: 1-line block ×3, first 2 shown]
	s_delay_alu instid0(VALU_DEP_3) | instskip(NEXT) | instid1(VALU_DEP_4)
	v_add_co_u32 v0, vcc_lo, v12, v0
	v_add_co_ci_u32_e32 v1, vcc_lo, 0, v1, vcc_lo
	s_delay_alu instid0(VALU_DEP_2) | instskip(NEXT) | instid1(VALU_DEP_2)
	v_add_co_u32 v0, vcc_lo, v0, v4
	v_add_co_ci_u32_e32 v0, vcc_lo, v1, v5, vcc_lo
	v_add_co_ci_u32_e32 v1, vcc_lo, 0, v7, vcc_lo
	s_delay_alu instid0(VALU_DEP_2) | instskip(NEXT) | instid1(VALU_DEP_2)
	v_add_co_u32 v4, vcc_lo, v0, v6
	v_add_co_ci_u32_e32 v5, vcc_lo, 0, v1, vcc_lo
	s_delay_alu instid0(VALU_DEP_2) | instskip(SKIP_1) | instid1(VALU_DEP_3)
	v_mul_lo_u32 v6, s15, v4
	v_mad_u64_u32 v[0:1], null, s14, v4, 0
	v_mul_lo_u32 v7, s14, v5
	s_delay_alu instid0(VALU_DEP_2) | instskip(NEXT) | instid1(VALU_DEP_2)
	v_sub_co_u32 v0, vcc_lo, v10, v0
	v_add3_u32 v1, v1, v7, v6
	s_delay_alu instid0(VALU_DEP_1) | instskip(NEXT) | instid1(VALU_DEP_1)
	v_sub_nc_u32_e32 v6, v8, v1
	v_subrev_co_ci_u32_e64 v6, s2, s15, v6, vcc_lo
	v_add_co_u32 v7, s2, v4, 2
	s_delay_alu instid0(VALU_DEP_1) | instskip(SKIP_3) | instid1(VALU_DEP_3)
	v_add_co_ci_u32_e64 v10, s2, 0, v5, s2
	v_sub_co_u32 v11, s2, v0, s14
	v_sub_co_ci_u32_e32 v1, vcc_lo, v8, v1, vcc_lo
	v_subrev_co_ci_u32_e64 v6, s2, 0, v6, s2
	v_cmp_le_u32_e32 vcc_lo, s14, v11
	s_delay_alu instid0(VALU_DEP_3) | instskip(SKIP_1) | instid1(VALU_DEP_4)
	v_cmp_eq_u32_e64 s2, s15, v1
	v_cndmask_b32_e64 v8, 0, -1, vcc_lo
	v_cmp_le_u32_e32 vcc_lo, s15, v6
	v_cndmask_b32_e64 v11, 0, -1, vcc_lo
	v_cmp_le_u32_e32 vcc_lo, s14, v0
	;; [unrolled: 2-line block ×3, first 2 shown]
	v_cndmask_b32_e64 v12, 0, -1, vcc_lo
	v_cmp_eq_u32_e32 vcc_lo, s15, v6
	s_delay_alu instid0(VALU_DEP_2) | instskip(SKIP_3) | instid1(VALU_DEP_3)
	v_cndmask_b32_e64 v0, v12, v0, s2
	v_cndmask_b32_e32 v6, v11, v8, vcc_lo
	v_add_co_u32 v8, vcc_lo, v4, 1
	v_add_co_ci_u32_e32 v11, vcc_lo, 0, v5, vcc_lo
	v_cmp_ne_u32_e32 vcc_lo, 0, v6
	s_delay_alu instid0(VALU_DEP_2) | instskip(SKIP_2) | instid1(VALU_DEP_3)
	v_dual_cndmask_b32 v1, v11, v10 :: v_dual_cndmask_b32 v6, v8, v7
	v_cmp_ne_u32_e32 vcc_lo, 0, v0
	v_xor_b32_e32 v0, s12, v9
	v_dual_cndmask_b32 v4, v4, v6 :: v_dual_cndmask_b32 v1, v5, v1
	s_delay_alu instid0(VALU_DEP_1) | instskip(NEXT) | instid1(VALU_DEP_2)
	v_xor_b32_e32 v4, v4, v0
	v_xor_b32_e32 v1, v1, v0
	s_delay_alu instid0(VALU_DEP_2) | instskip(NEXT) | instid1(VALU_DEP_2)
	v_sub_co_u32 v4, vcc_lo, v4, v0
	v_sub_co_ci_u32_e32 v5, vcc_lo, v1, v0, vcc_lo
.LBB0_3:
	s_and_not1_saveexec_b32 s2, s3
	s_cbranch_execz .LBB0_5
; %bb.4:
	v_cvt_f32_u32_e32 v0, s4
	s_sub_i32 s3, 0, s4
	s_delay_alu instid0(VALU_DEP_1) | instskip(SKIP_2) | instid1(VALU_DEP_1)
	v_rcp_iflag_f32_e32 v0, v0
	s_waitcnt_depctr 0xfff
	v_mul_f32_e32 v0, 0x4f7ffffe, v0
	v_cvt_u32_f32_e32 v0, v0
	s_delay_alu instid0(VALU_DEP_1) | instskip(NEXT) | instid1(VALU_DEP_1)
	v_mul_lo_u32 v1, s3, v0
	v_mul_hi_u32 v1, v0, v1
	s_delay_alu instid0(VALU_DEP_1) | instskip(NEXT) | instid1(VALU_DEP_1)
	v_add_nc_u32_e32 v0, v0, v1
	v_mul_hi_u32 v0, v2, v0
	s_delay_alu instid0(VALU_DEP_1) | instskip(SKIP_1) | instid1(VALU_DEP_2)
	v_mul_lo_u32 v1, v0, s4
	v_add_nc_u32_e32 v4, 1, v0
	v_sub_nc_u32_e32 v1, v2, v1
	s_delay_alu instid0(VALU_DEP_1) | instskip(SKIP_1) | instid1(VALU_DEP_2)
	v_subrev_nc_u32_e32 v5, s4, v1
	v_cmp_le_u32_e32 vcc_lo, s4, v1
	v_cndmask_b32_e32 v1, v1, v5, vcc_lo
	v_dual_mov_b32 v5, 0 :: v_dual_cndmask_b32 v0, v0, v4
	s_delay_alu instid0(VALU_DEP_2) | instskip(NEXT) | instid1(VALU_DEP_2)
	v_cmp_le_u32_e32 vcc_lo, s4, v1
	v_add_nc_u32_e32 v4, 1, v0
	s_delay_alu instid0(VALU_DEP_1)
	v_cndmask_b32_e32 v4, v0, v4, vcc_lo
.LBB0_5:
	s_or_b32 exec_lo, exec_lo, s2
	s_delay_alu instid0(VALU_DEP_1) | instskip(SKIP_1) | instid1(VALU_DEP_1)
	v_or_b32_e32 v1, s7, v5
	v_mov_b32_e32 v0, 0
	v_cmp_ne_u64_e32 vcc_lo, 0, v[0:1]
                                        ; implicit-def: $vgpr0_vgpr1
	s_and_saveexec_b32 s2, vcc_lo
	s_delay_alu instid0(SALU_CYCLE_1)
	s_xor_b32 s3, exec_lo, s2
	s_cbranch_execz .LBB0_7
; %bb.6:
	s_ashr_i32 s12, s7, 31
	s_delay_alu instid0(SALU_CYCLE_1) | instskip(SKIP_2) | instid1(SALU_CYCLE_1)
	s_add_u32 s14, s6, s12
	s_mov_b32 s13, s12
	s_addc_u32 s15, s7, s12
	s_xor_b64 s[12:13], s[14:15], s[12:13]
	s_delay_alu instid0(SALU_CYCLE_1) | instskip(SKIP_3) | instid1(VALU_DEP_1)
	v_cvt_f32_u32_e32 v0, s12
	v_cvt_f32_u32_e32 v1, s13
	s_sub_u32 s2, 0, s12
	s_subb_u32 s14, 0, s13
	v_fmamk_f32 v0, v1, 0x4f800000, v0
	s_delay_alu instid0(VALU_DEP_1) | instskip(SKIP_2) | instid1(VALU_DEP_1)
	v_rcp_f32_e32 v0, v0
	s_waitcnt_depctr 0xfff
	v_mul_f32_e32 v0, 0x5f7ffffc, v0
	v_mul_f32_e32 v1, 0x2f800000, v0
	s_delay_alu instid0(VALU_DEP_1) | instskip(NEXT) | instid1(VALU_DEP_1)
	v_trunc_f32_e32 v1, v1
	v_fmamk_f32 v0, v1, 0xcf800000, v0
	v_cvt_u32_f32_e32 v1, v1
	s_delay_alu instid0(VALU_DEP_2) | instskip(NEXT) | instid1(VALU_DEP_2)
	v_cvt_u32_f32_e32 v0, v0
	v_mul_lo_u32 v6, s2, v1
	s_delay_alu instid0(VALU_DEP_2) | instskip(SKIP_1) | instid1(VALU_DEP_2)
	v_mul_hi_u32 v7, s2, v0
	v_mul_lo_u32 v8, s14, v0
	v_add_nc_u32_e32 v6, v7, v6
	v_mul_lo_u32 v7, s2, v0
	s_delay_alu instid0(VALU_DEP_2) | instskip(NEXT) | instid1(VALU_DEP_2)
	v_add_nc_u32_e32 v6, v6, v8
	v_mul_hi_u32 v8, v0, v7
	s_delay_alu instid0(VALU_DEP_2)
	v_mul_lo_u32 v9, v0, v6
	v_mul_hi_u32 v10, v0, v6
	v_mul_hi_u32 v11, v1, v7
	v_mul_lo_u32 v7, v1, v7
	v_mul_hi_u32 v12, v1, v6
	v_mul_lo_u32 v6, v1, v6
	v_add_co_u32 v8, vcc_lo, v8, v9
	v_add_co_ci_u32_e32 v9, vcc_lo, 0, v10, vcc_lo
	s_delay_alu instid0(VALU_DEP_2) | instskip(NEXT) | instid1(VALU_DEP_2)
	v_add_co_u32 v7, vcc_lo, v8, v7
	v_add_co_ci_u32_e32 v7, vcc_lo, v9, v11, vcc_lo
	v_add_co_ci_u32_e32 v8, vcc_lo, 0, v12, vcc_lo
	v_ashrrev_i32_e32 v11, 31, v5
	s_delay_alu instid0(VALU_DEP_3) | instskip(NEXT) | instid1(VALU_DEP_3)
	v_add_co_u32 v6, vcc_lo, v7, v6
	v_add_co_ci_u32_e32 v7, vcc_lo, 0, v8, vcc_lo
	s_delay_alu instid0(VALU_DEP_2) | instskip(NEXT) | instid1(VALU_DEP_2)
	v_add_co_u32 v0, vcc_lo, v0, v6
	v_add_co_ci_u32_e32 v1, vcc_lo, v1, v7, vcc_lo
	s_delay_alu instid0(VALU_DEP_2) | instskip(SKIP_1) | instid1(VALU_DEP_3)
	v_mul_hi_u32 v6, s2, v0
	v_mul_lo_u32 v8, s14, v0
	v_mul_lo_u32 v7, s2, v1
	s_delay_alu instid0(VALU_DEP_1) | instskip(SKIP_1) | instid1(VALU_DEP_2)
	v_add_nc_u32_e32 v6, v6, v7
	v_mul_lo_u32 v7, s2, v0
	v_add_nc_u32_e32 v6, v6, v8
	s_delay_alu instid0(VALU_DEP_2) | instskip(NEXT) | instid1(VALU_DEP_2)
	v_mul_hi_u32 v8, v0, v7
	v_mul_lo_u32 v9, v0, v6
	v_mul_hi_u32 v10, v0, v6
	v_mul_hi_u32 v12, v1, v7
	v_mul_lo_u32 v7, v1, v7
	v_mul_hi_u32 v13, v1, v6
	v_mul_lo_u32 v6, v1, v6
	v_add_co_u32 v8, vcc_lo, v8, v9
	v_add_co_ci_u32_e32 v9, vcc_lo, 0, v10, vcc_lo
	s_delay_alu instid0(VALU_DEP_2) | instskip(NEXT) | instid1(VALU_DEP_2)
	v_add_co_u32 v7, vcc_lo, v8, v7
	v_add_co_ci_u32_e32 v7, vcc_lo, v9, v12, vcc_lo
	v_add_co_ci_u32_e32 v8, vcc_lo, 0, v13, vcc_lo
	v_add_co_u32 v9, vcc_lo, v4, v11
	v_add_co_ci_u32_e32 v10, vcc_lo, v5, v11, vcc_lo
	s_delay_alu instid0(VALU_DEP_4) | instskip(NEXT) | instid1(VALU_DEP_4)
	v_add_co_u32 v6, vcc_lo, v7, v6
	v_add_co_ci_u32_e32 v7, vcc_lo, 0, v8, vcc_lo
	s_delay_alu instid0(VALU_DEP_4) | instskip(NEXT) | instid1(VALU_DEP_3)
	v_xor_b32_e32 v12, v9, v11
	v_add_co_u32 v8, vcc_lo, v0, v6
	s_delay_alu instid0(VALU_DEP_3) | instskip(SKIP_1) | instid1(VALU_DEP_3)
	v_add_co_ci_u32_e32 v13, vcc_lo, v1, v7, vcc_lo
	v_xor_b32_e32 v10, v10, v11
	v_mul_hi_u32 v14, v12, v8
	s_delay_alu instid0(VALU_DEP_3) | instskip(NEXT) | instid1(VALU_DEP_3)
	v_mad_u64_u32 v[0:1], null, v12, v13, 0
	v_mad_u64_u32 v[6:7], null, v10, v8, 0
	;; [unrolled: 1-line block ×3, first 2 shown]
	s_delay_alu instid0(VALU_DEP_3) | instskip(NEXT) | instid1(VALU_DEP_4)
	v_add_co_u32 v0, vcc_lo, v14, v0
	v_add_co_ci_u32_e32 v1, vcc_lo, 0, v1, vcc_lo
	s_delay_alu instid0(VALU_DEP_2) | instskip(NEXT) | instid1(VALU_DEP_2)
	v_add_co_u32 v0, vcc_lo, v0, v6
	v_add_co_ci_u32_e32 v0, vcc_lo, v1, v7, vcc_lo
	v_add_co_ci_u32_e32 v1, vcc_lo, 0, v9, vcc_lo
	s_delay_alu instid0(VALU_DEP_2) | instskip(NEXT) | instid1(VALU_DEP_2)
	v_add_co_u32 v6, vcc_lo, v0, v8
	v_add_co_ci_u32_e32 v7, vcc_lo, 0, v1, vcc_lo
	s_delay_alu instid0(VALU_DEP_2) | instskip(SKIP_1) | instid1(VALU_DEP_3)
	v_mul_lo_u32 v8, s13, v6
	v_mad_u64_u32 v[0:1], null, s12, v6, 0
	v_mul_lo_u32 v6, s12, v7
	s_delay_alu instid0(VALU_DEP_2) | instskip(NEXT) | instid1(VALU_DEP_2)
	v_sub_co_u32 v0, vcc_lo, v12, v0
	v_add3_u32 v1, v1, v6, v8
	s_delay_alu instid0(VALU_DEP_1) | instskip(NEXT) | instid1(VALU_DEP_1)
	v_sub_nc_u32_e32 v6, v10, v1
	v_subrev_co_ci_u32_e64 v6, s2, s13, v6, vcc_lo
	v_sub_co_ci_u32_e32 v1, vcc_lo, v10, v1, vcc_lo
	v_sub_co_u32 v7, vcc_lo, v0, s12
	s_delay_alu instid0(VALU_DEP_1) | instskip(SKIP_3) | instid1(VALU_DEP_3)
	v_subrev_co_ci_u32_e64 v8, s2, 0, v6, vcc_lo
	v_cmp_le_u32_e64 s2, s12, v0
	v_subrev_co_ci_u32_e32 v6, vcc_lo, s13, v6, vcc_lo
	v_cmp_le_u32_e32 vcc_lo, s13, v1
	v_cndmask_b32_e64 v9, 0, -1, s2
	v_cmp_le_u32_e64 s2, s12, v7
	v_cndmask_b32_e64 v13, 0, -1, vcc_lo
	v_cmp_eq_u32_e32 vcc_lo, s13, v8
	s_delay_alu instid0(VALU_DEP_3) | instskip(SKIP_1) | instid1(VALU_DEP_1)
	v_cndmask_b32_e64 v10, 0, -1, s2
	v_cmp_le_u32_e64 s2, s13, v8
	v_cndmask_b32_e64 v12, 0, -1, s2
	v_cmp_eq_u32_e64 s2, s13, v1
	s_delay_alu instid0(VALU_DEP_2) | instskip(SKIP_2) | instid1(VALU_DEP_3)
	v_cndmask_b32_e32 v10, v12, v10, vcc_lo
	v_sub_co_u32 v12, vcc_lo, v7, s12
	v_subrev_co_ci_u32_e32 v6, vcc_lo, 0, v6, vcc_lo
	v_cmp_ne_u32_e32 vcc_lo, 0, v10
	v_cndmask_b32_e64 v9, v13, v9, s2
	s_delay_alu instid0(VALU_DEP_3) | instskip(NEXT) | instid1(VALU_DEP_2)
	v_dual_cndmask_b32 v6, v8, v6 :: v_dual_cndmask_b32 v7, v7, v12
	v_cmp_ne_u32_e32 vcc_lo, 0, v9
	s_delay_alu instid0(VALU_DEP_2) | instskip(NEXT) | instid1(VALU_DEP_1)
	v_dual_cndmask_b32 v0, v0, v7 :: v_dual_cndmask_b32 v1, v1, v6
	v_xor_b32_e32 v0, v0, v11
	s_delay_alu instid0(VALU_DEP_2) | instskip(NEXT) | instid1(VALU_DEP_2)
	v_xor_b32_e32 v1, v1, v11
	v_sub_co_u32 v0, vcc_lo, v0, v11
	s_delay_alu instid0(VALU_DEP_2)
	v_sub_co_ci_u32_e32 v1, vcc_lo, v1, v11, vcc_lo
.LBB0_7:
	s_and_not1_saveexec_b32 s2, s3
	s_cbranch_execz .LBB0_9
; %bb.8:
	v_cvt_f32_u32_e32 v0, s6
	s_sub_i32 s3, 0, s6
	s_delay_alu instid0(VALU_DEP_1) | instskip(SKIP_2) | instid1(VALU_DEP_1)
	v_rcp_iflag_f32_e32 v0, v0
	s_waitcnt_depctr 0xfff
	v_mul_f32_e32 v0, 0x4f7ffffe, v0
	v_cvt_u32_f32_e32 v0, v0
	s_delay_alu instid0(VALU_DEP_1) | instskip(NEXT) | instid1(VALU_DEP_1)
	v_mul_lo_u32 v1, s3, v0
	v_mul_hi_u32 v1, v0, v1
	s_delay_alu instid0(VALU_DEP_1) | instskip(NEXT) | instid1(VALU_DEP_1)
	v_add_nc_u32_e32 v0, v0, v1
	v_mul_hi_u32 v0, v4, v0
	s_delay_alu instid0(VALU_DEP_1) | instskip(NEXT) | instid1(VALU_DEP_1)
	v_mul_lo_u32 v0, v0, s6
	v_sub_nc_u32_e32 v0, v4, v0
	s_delay_alu instid0(VALU_DEP_1) | instskip(SKIP_1) | instid1(VALU_DEP_2)
	v_subrev_nc_u32_e32 v1, s6, v0
	v_cmp_le_u32_e32 vcc_lo, s6, v0
	v_cndmask_b32_e32 v0, v0, v1, vcc_lo
	s_delay_alu instid0(VALU_DEP_1) | instskip(SKIP_1) | instid1(VALU_DEP_2)
	v_subrev_nc_u32_e32 v1, s6, v0
	v_cmp_le_u32_e32 vcc_lo, s6, v0
	v_dual_cndmask_b32 v0, v0, v1 :: v_dual_mov_b32 v1, 0
.LBB0_9:
	s_or_b32 exec_lo, exec_lo, s2
	v_or_b32_e32 v7, s17, v3
	v_mov_b32_e32 v6, 0
	v_ashrrev_i32_e32 v12, 31, v3
                                        ; implicit-def: $vgpr8_vgpr9
	s_mov_b32 s2, exec_lo
	s_delay_alu instid0(VALU_DEP_2)
	v_cmpx_ne_u64_e32 0, v[6:7]
	s_xor_b32 s3, exec_lo, s2
	s_cbranch_execz .LBB0_11
; %bb.10:
	s_ashr_i32 s12, s17, 31
	s_delay_alu instid0(SALU_CYCLE_1) | instskip(SKIP_2) | instid1(SALU_CYCLE_1)
	s_add_u32 s14, s16, s12
	s_mov_b32 s13, s12
	s_addc_u32 s15, s17, s12
	s_xor_b64 s[14:15], s[14:15], s[12:13]
	s_delay_alu instid0(SALU_CYCLE_1) | instskip(SKIP_3) | instid1(VALU_DEP_1)
	v_cvt_f32_u32_e32 v6, s14
	v_cvt_f32_u32_e32 v7, s15
	s_sub_u32 s2, 0, s14
	s_subb_u32 s13, 0, s15
	v_fmamk_f32 v6, v7, 0x4f800000, v6
	s_delay_alu instid0(VALU_DEP_1) | instskip(SKIP_2) | instid1(VALU_DEP_1)
	v_rcp_f32_e32 v6, v6
	s_waitcnt_depctr 0xfff
	v_mul_f32_e32 v6, 0x5f7ffffc, v6
	v_mul_f32_e32 v7, 0x2f800000, v6
	s_delay_alu instid0(VALU_DEP_1) | instskip(NEXT) | instid1(VALU_DEP_1)
	v_trunc_f32_e32 v7, v7
	v_fmamk_f32 v6, v7, 0xcf800000, v6
	v_cvt_u32_f32_e32 v7, v7
	s_delay_alu instid0(VALU_DEP_2) | instskip(NEXT) | instid1(VALU_DEP_2)
	v_cvt_u32_f32_e32 v6, v6
	v_mul_lo_u32 v8, s2, v7
	s_delay_alu instid0(VALU_DEP_2) | instskip(SKIP_1) | instid1(VALU_DEP_2)
	v_mul_hi_u32 v9, s2, v6
	v_mul_lo_u32 v10, s13, v6
	v_add_nc_u32_e32 v8, v9, v8
	v_mul_lo_u32 v9, s2, v6
	s_delay_alu instid0(VALU_DEP_2) | instskip(NEXT) | instid1(VALU_DEP_2)
	v_add_nc_u32_e32 v8, v8, v10
	v_mul_hi_u32 v10, v6, v9
	s_delay_alu instid0(VALU_DEP_2)
	v_mul_lo_u32 v11, v6, v8
	v_mul_hi_u32 v13, v6, v8
	v_mul_hi_u32 v14, v7, v9
	v_mul_lo_u32 v9, v7, v9
	v_mul_hi_u32 v15, v7, v8
	v_mul_lo_u32 v8, v7, v8
	v_add_co_u32 v10, vcc_lo, v10, v11
	v_add_co_ci_u32_e32 v11, vcc_lo, 0, v13, vcc_lo
	s_delay_alu instid0(VALU_DEP_2) | instskip(NEXT) | instid1(VALU_DEP_2)
	v_add_co_u32 v9, vcc_lo, v10, v9
	v_add_co_ci_u32_e32 v9, vcc_lo, v11, v14, vcc_lo
	v_add_co_ci_u32_e32 v10, vcc_lo, 0, v15, vcc_lo
	s_delay_alu instid0(VALU_DEP_2) | instskip(NEXT) | instid1(VALU_DEP_2)
	v_add_co_u32 v8, vcc_lo, v9, v8
	v_add_co_ci_u32_e32 v9, vcc_lo, 0, v10, vcc_lo
	s_delay_alu instid0(VALU_DEP_2) | instskip(NEXT) | instid1(VALU_DEP_2)
	v_add_co_u32 v6, vcc_lo, v6, v8
	v_add_co_ci_u32_e32 v7, vcc_lo, v7, v9, vcc_lo
	s_delay_alu instid0(VALU_DEP_2) | instskip(SKIP_1) | instid1(VALU_DEP_3)
	v_mul_hi_u32 v8, s2, v6
	v_mul_lo_u32 v10, s13, v6
	v_mul_lo_u32 v9, s2, v7
	s_delay_alu instid0(VALU_DEP_1) | instskip(SKIP_1) | instid1(VALU_DEP_2)
	v_add_nc_u32_e32 v8, v8, v9
	v_mul_lo_u32 v9, s2, v6
	v_add_nc_u32_e32 v8, v8, v10
	s_delay_alu instid0(VALU_DEP_2) | instskip(NEXT) | instid1(VALU_DEP_2)
	v_mul_hi_u32 v10, v6, v9
	v_mul_lo_u32 v11, v6, v8
	v_mul_hi_u32 v13, v6, v8
	v_mul_hi_u32 v14, v7, v9
	v_mul_lo_u32 v9, v7, v9
	v_mul_hi_u32 v15, v7, v8
	v_mul_lo_u32 v8, v7, v8
	v_add_co_u32 v10, vcc_lo, v10, v11
	v_add_co_ci_u32_e32 v11, vcc_lo, 0, v13, vcc_lo
	s_delay_alu instid0(VALU_DEP_2) | instskip(NEXT) | instid1(VALU_DEP_2)
	v_add_co_u32 v9, vcc_lo, v10, v9
	v_add_co_ci_u32_e32 v9, vcc_lo, v11, v14, vcc_lo
	v_add_co_ci_u32_e32 v10, vcc_lo, 0, v15, vcc_lo
	v_add_co_u32 v11, vcc_lo, v2, v12
	v_add_co_ci_u32_e32 v13, vcc_lo, v3, v12, vcc_lo
	s_delay_alu instid0(VALU_DEP_4) | instskip(NEXT) | instid1(VALU_DEP_4)
	v_add_co_u32 v8, vcc_lo, v9, v8
	v_add_co_ci_u32_e32 v9, vcc_lo, 0, v10, vcc_lo
	s_delay_alu instid0(VALU_DEP_4) | instskip(NEXT) | instid1(VALU_DEP_3)
	v_xor_b32_e32 v14, v11, v12
	v_add_co_u32 v10, vcc_lo, v6, v8
	s_delay_alu instid0(VALU_DEP_3) | instskip(SKIP_1) | instid1(VALU_DEP_3)
	v_add_co_ci_u32_e32 v15, vcc_lo, v7, v9, vcc_lo
	v_xor_b32_e32 v13, v13, v12
	v_mul_hi_u32 v16, v14, v10
	s_delay_alu instid0(VALU_DEP_3) | instskip(NEXT) | instid1(VALU_DEP_3)
	v_mad_u64_u32 v[6:7], null, v14, v15, 0
	v_mad_u64_u32 v[8:9], null, v13, v10, 0
	;; [unrolled: 1-line block ×3, first 2 shown]
	s_delay_alu instid0(VALU_DEP_3) | instskip(NEXT) | instid1(VALU_DEP_4)
	v_add_co_u32 v6, vcc_lo, v16, v6
	v_add_co_ci_u32_e32 v7, vcc_lo, 0, v7, vcc_lo
	s_delay_alu instid0(VALU_DEP_2) | instskip(NEXT) | instid1(VALU_DEP_2)
	v_add_co_u32 v6, vcc_lo, v6, v8
	v_add_co_ci_u32_e32 v6, vcc_lo, v7, v9, vcc_lo
	v_add_co_ci_u32_e32 v7, vcc_lo, 0, v11, vcc_lo
	s_delay_alu instid0(VALU_DEP_2) | instskip(NEXT) | instid1(VALU_DEP_2)
	v_add_co_u32 v8, vcc_lo, v6, v10
	v_add_co_ci_u32_e32 v9, vcc_lo, 0, v7, vcc_lo
	s_delay_alu instid0(VALU_DEP_2) | instskip(SKIP_1) | instid1(VALU_DEP_3)
	v_mul_lo_u32 v10, s15, v8
	v_mad_u64_u32 v[6:7], null, s14, v8, 0
	v_mul_lo_u32 v11, s14, v9
	s_delay_alu instid0(VALU_DEP_2) | instskip(NEXT) | instid1(VALU_DEP_2)
	v_sub_co_u32 v6, vcc_lo, v14, v6
	v_add3_u32 v7, v7, v11, v10
	s_delay_alu instid0(VALU_DEP_1) | instskip(NEXT) | instid1(VALU_DEP_1)
	v_sub_nc_u32_e32 v10, v13, v7
	v_subrev_co_ci_u32_e64 v10, s2, s15, v10, vcc_lo
	v_add_co_u32 v11, s2, v8, 2
	s_delay_alu instid0(VALU_DEP_1) | instskip(SKIP_3) | instid1(VALU_DEP_3)
	v_add_co_ci_u32_e64 v14, s2, 0, v9, s2
	v_sub_co_u32 v15, s2, v6, s14
	v_sub_co_ci_u32_e32 v7, vcc_lo, v13, v7, vcc_lo
	v_subrev_co_ci_u32_e64 v10, s2, 0, v10, s2
	v_cmp_le_u32_e32 vcc_lo, s14, v15
	s_delay_alu instid0(VALU_DEP_3) | instskip(SKIP_1) | instid1(VALU_DEP_4)
	v_cmp_eq_u32_e64 s2, s15, v7
	v_cndmask_b32_e64 v13, 0, -1, vcc_lo
	v_cmp_le_u32_e32 vcc_lo, s15, v10
	v_cndmask_b32_e64 v15, 0, -1, vcc_lo
	v_cmp_le_u32_e32 vcc_lo, s14, v6
	;; [unrolled: 2-line block ×3, first 2 shown]
	v_cndmask_b32_e64 v16, 0, -1, vcc_lo
	v_cmp_eq_u32_e32 vcc_lo, s15, v10
	s_delay_alu instid0(VALU_DEP_2) | instskip(SKIP_3) | instid1(VALU_DEP_3)
	v_cndmask_b32_e64 v6, v16, v6, s2
	v_cndmask_b32_e32 v10, v15, v13, vcc_lo
	v_add_co_u32 v13, vcc_lo, v8, 1
	v_add_co_ci_u32_e32 v15, vcc_lo, 0, v9, vcc_lo
	v_cmp_ne_u32_e32 vcc_lo, 0, v10
	s_delay_alu instid0(VALU_DEP_2) | instskip(SKIP_2) | instid1(VALU_DEP_3)
	v_dual_cndmask_b32 v7, v15, v14 :: v_dual_cndmask_b32 v10, v13, v11
	v_cmp_ne_u32_e32 vcc_lo, 0, v6
	v_xor_b32_e32 v6, s12, v12
	v_dual_cndmask_b32 v8, v8, v10 :: v_dual_cndmask_b32 v7, v9, v7
	s_delay_alu instid0(VALU_DEP_1) | instskip(NEXT) | instid1(VALU_DEP_2)
	v_xor_b32_e32 v8, v8, v6
	v_xor_b32_e32 v7, v7, v6
	s_delay_alu instid0(VALU_DEP_2) | instskip(NEXT) | instid1(VALU_DEP_2)
	v_sub_co_u32 v8, vcc_lo, v8, v6
	v_sub_co_ci_u32_e32 v9, vcc_lo, v7, v6, vcc_lo
.LBB0_11:
	s_and_not1_saveexec_b32 s2, s3
	s_cbranch_execz .LBB0_13
; %bb.12:
	v_cvt_f32_u32_e32 v6, s16
	s_sub_i32 s3, 0, s16
	s_delay_alu instid0(VALU_DEP_1) | instskip(SKIP_2) | instid1(VALU_DEP_1)
	v_rcp_iflag_f32_e32 v6, v6
	s_waitcnt_depctr 0xfff
	v_mul_f32_e32 v6, 0x4f7ffffe, v6
	v_cvt_u32_f32_e32 v6, v6
	s_delay_alu instid0(VALU_DEP_1) | instskip(NEXT) | instid1(VALU_DEP_1)
	v_mul_lo_u32 v7, s3, v6
	v_mul_hi_u32 v7, v6, v7
	s_delay_alu instid0(VALU_DEP_1) | instskip(NEXT) | instid1(VALU_DEP_1)
	v_add_nc_u32_e32 v6, v6, v7
	v_mul_hi_u32 v6, v2, v6
	s_delay_alu instid0(VALU_DEP_1) | instskip(SKIP_1) | instid1(VALU_DEP_2)
	v_mul_lo_u32 v7, v6, s16
	v_add_nc_u32_e32 v8, 1, v6
	v_sub_nc_u32_e32 v7, v2, v7
	s_delay_alu instid0(VALU_DEP_1) | instskip(SKIP_1) | instid1(VALU_DEP_2)
	v_subrev_nc_u32_e32 v9, s16, v7
	v_cmp_le_u32_e32 vcc_lo, s16, v7
	v_cndmask_b32_e32 v7, v7, v9, vcc_lo
	v_dual_mov_b32 v9, 0 :: v_dual_cndmask_b32 v6, v6, v8
	s_delay_alu instid0(VALU_DEP_2) | instskip(NEXT) | instid1(VALU_DEP_2)
	v_cmp_le_u32_e32 vcc_lo, s16, v7
	v_add_nc_u32_e32 v8, 1, v6
	s_delay_alu instid0(VALU_DEP_1)
	v_cndmask_b32_e32 v8, v6, v8, vcc_lo
.LBB0_13:
	s_or_b32 exec_lo, exec_lo, s2
	s_delay_alu instid0(VALU_DEP_1) | instskip(SKIP_1) | instid1(VALU_DEP_1)
	v_or_b32_e32 v7, s9, v9
	v_mov_b32_e32 v6, 0
	v_cmp_ne_u64_e32 vcc_lo, 0, v[6:7]
                                        ; implicit-def: $vgpr6_vgpr7
	s_and_saveexec_b32 s2, vcc_lo
	s_delay_alu instid0(SALU_CYCLE_1)
	s_xor_b32 s3, exec_lo, s2
	s_cbranch_execz .LBB0_15
; %bb.14:
	s_ashr_i32 s12, s9, 31
	s_delay_alu instid0(SALU_CYCLE_1) | instskip(SKIP_2) | instid1(SALU_CYCLE_1)
	s_add_u32 s14, s8, s12
	s_mov_b32 s13, s12
	s_addc_u32 s15, s9, s12
	s_xor_b64 s[12:13], s[14:15], s[12:13]
	s_delay_alu instid0(SALU_CYCLE_1) | instskip(SKIP_3) | instid1(VALU_DEP_1)
	v_cvt_f32_u32_e32 v6, s12
	v_cvt_f32_u32_e32 v7, s13
	s_sub_u32 s2, 0, s12
	s_subb_u32 s14, 0, s13
	v_fmamk_f32 v6, v7, 0x4f800000, v6
	s_delay_alu instid0(VALU_DEP_1) | instskip(SKIP_2) | instid1(VALU_DEP_1)
	v_rcp_f32_e32 v6, v6
	s_waitcnt_depctr 0xfff
	v_mul_f32_e32 v6, 0x5f7ffffc, v6
	v_mul_f32_e32 v7, 0x2f800000, v6
	s_delay_alu instid0(VALU_DEP_1) | instskip(NEXT) | instid1(VALU_DEP_1)
	v_trunc_f32_e32 v7, v7
	v_fmamk_f32 v6, v7, 0xcf800000, v6
	v_cvt_u32_f32_e32 v7, v7
	s_delay_alu instid0(VALU_DEP_2) | instskip(NEXT) | instid1(VALU_DEP_2)
	v_cvt_u32_f32_e32 v6, v6
	v_mul_lo_u32 v10, s2, v7
	s_delay_alu instid0(VALU_DEP_2) | instskip(SKIP_1) | instid1(VALU_DEP_2)
	v_mul_hi_u32 v11, s2, v6
	v_mul_lo_u32 v13, s14, v6
	v_add_nc_u32_e32 v10, v11, v10
	v_mul_lo_u32 v11, s2, v6
	s_delay_alu instid0(VALU_DEP_2) | instskip(NEXT) | instid1(VALU_DEP_2)
	v_add_nc_u32_e32 v10, v10, v13
	v_mul_hi_u32 v13, v6, v11
	s_delay_alu instid0(VALU_DEP_2)
	v_mul_lo_u32 v14, v6, v10
	v_mul_hi_u32 v15, v6, v10
	v_mul_hi_u32 v16, v7, v11
	v_mul_lo_u32 v11, v7, v11
	v_mul_hi_u32 v17, v7, v10
	v_mul_lo_u32 v10, v7, v10
	v_add_co_u32 v13, vcc_lo, v13, v14
	v_add_co_ci_u32_e32 v14, vcc_lo, 0, v15, vcc_lo
	s_delay_alu instid0(VALU_DEP_2) | instskip(NEXT) | instid1(VALU_DEP_2)
	v_add_co_u32 v11, vcc_lo, v13, v11
	v_add_co_ci_u32_e32 v11, vcc_lo, v14, v16, vcc_lo
	v_add_co_ci_u32_e32 v13, vcc_lo, 0, v17, vcc_lo
	v_ashrrev_i32_e32 v16, 31, v9
	s_delay_alu instid0(VALU_DEP_3) | instskip(NEXT) | instid1(VALU_DEP_3)
	v_add_co_u32 v10, vcc_lo, v11, v10
	v_add_co_ci_u32_e32 v11, vcc_lo, 0, v13, vcc_lo
	s_delay_alu instid0(VALU_DEP_2) | instskip(NEXT) | instid1(VALU_DEP_2)
	v_add_co_u32 v6, vcc_lo, v6, v10
	v_add_co_ci_u32_e32 v7, vcc_lo, v7, v11, vcc_lo
	s_delay_alu instid0(VALU_DEP_2) | instskip(SKIP_1) | instid1(VALU_DEP_3)
	v_mul_hi_u32 v10, s2, v6
	v_mul_lo_u32 v13, s14, v6
	v_mul_lo_u32 v11, s2, v7
	s_delay_alu instid0(VALU_DEP_1) | instskip(SKIP_1) | instid1(VALU_DEP_2)
	v_add_nc_u32_e32 v10, v10, v11
	v_mul_lo_u32 v11, s2, v6
	v_add_nc_u32_e32 v10, v10, v13
	s_delay_alu instid0(VALU_DEP_2) | instskip(NEXT) | instid1(VALU_DEP_2)
	v_mul_hi_u32 v13, v6, v11
	v_mul_lo_u32 v14, v6, v10
	v_mul_hi_u32 v15, v6, v10
	v_mul_hi_u32 v17, v7, v11
	v_mul_lo_u32 v11, v7, v11
	v_mul_hi_u32 v18, v7, v10
	v_mul_lo_u32 v10, v7, v10
	v_add_co_u32 v13, vcc_lo, v13, v14
	v_add_co_ci_u32_e32 v14, vcc_lo, 0, v15, vcc_lo
	s_delay_alu instid0(VALU_DEP_2) | instskip(NEXT) | instid1(VALU_DEP_2)
	v_add_co_u32 v11, vcc_lo, v13, v11
	v_add_co_ci_u32_e32 v11, vcc_lo, v14, v17, vcc_lo
	v_add_co_ci_u32_e32 v13, vcc_lo, 0, v18, vcc_lo
	v_add_co_u32 v8, vcc_lo, v8, v16
	v_add_co_ci_u32_e32 v9, vcc_lo, v9, v16, vcc_lo
	s_delay_alu instid0(VALU_DEP_4) | instskip(NEXT) | instid1(VALU_DEP_4)
	v_add_co_u32 v10, vcc_lo, v11, v10
	v_add_co_ci_u32_e32 v11, vcc_lo, 0, v13, vcc_lo
	s_delay_alu instid0(VALU_DEP_4) | instskip(NEXT) | instid1(VALU_DEP_3)
	v_xor_b32_e32 v13, v8, v16
	v_add_co_u32 v10, vcc_lo, v6, v10
	s_delay_alu instid0(VALU_DEP_3) | instskip(SKIP_1) | instid1(VALU_DEP_3)
	v_add_co_ci_u32_e32 v14, vcc_lo, v7, v11, vcc_lo
	v_xor_b32_e32 v15, v9, v16
	v_mul_hi_u32 v17, v13, v10
	s_delay_alu instid0(VALU_DEP_3) | instskip(NEXT) | instid1(VALU_DEP_3)
	v_mad_u64_u32 v[6:7], null, v13, v14, 0
	v_mad_u64_u32 v[8:9], null, v15, v10, 0
	;; [unrolled: 1-line block ×3, first 2 shown]
	s_delay_alu instid0(VALU_DEP_3) | instskip(NEXT) | instid1(VALU_DEP_4)
	v_add_co_u32 v6, vcc_lo, v17, v6
	v_add_co_ci_u32_e32 v7, vcc_lo, 0, v7, vcc_lo
	s_delay_alu instid0(VALU_DEP_2) | instskip(NEXT) | instid1(VALU_DEP_2)
	v_add_co_u32 v6, vcc_lo, v6, v8
	v_add_co_ci_u32_e32 v6, vcc_lo, v7, v9, vcc_lo
	v_add_co_ci_u32_e32 v7, vcc_lo, 0, v11, vcc_lo
	s_delay_alu instid0(VALU_DEP_2) | instskip(NEXT) | instid1(VALU_DEP_2)
	v_add_co_u32 v8, vcc_lo, v6, v10
	v_add_co_ci_u32_e32 v9, vcc_lo, 0, v7, vcc_lo
	s_delay_alu instid0(VALU_DEP_2) | instskip(SKIP_1) | instid1(VALU_DEP_3)
	v_mul_lo_u32 v10, s13, v8
	v_mad_u64_u32 v[6:7], null, s12, v8, 0
	v_mul_lo_u32 v8, s12, v9
	s_delay_alu instid0(VALU_DEP_2) | instskip(NEXT) | instid1(VALU_DEP_2)
	v_sub_co_u32 v6, vcc_lo, v13, v6
	v_add3_u32 v7, v7, v8, v10
	s_delay_alu instid0(VALU_DEP_1) | instskip(NEXT) | instid1(VALU_DEP_1)
	v_sub_nc_u32_e32 v8, v15, v7
	v_subrev_co_ci_u32_e64 v8, s2, s13, v8, vcc_lo
	v_sub_co_ci_u32_e32 v7, vcc_lo, v15, v7, vcc_lo
	v_sub_co_u32 v9, vcc_lo, v6, s12
	s_delay_alu instid0(VALU_DEP_1) | instskip(SKIP_3) | instid1(VALU_DEP_3)
	v_subrev_co_ci_u32_e64 v10, s2, 0, v8, vcc_lo
	v_cmp_le_u32_e64 s2, s12, v6
	v_subrev_co_ci_u32_e32 v8, vcc_lo, s13, v8, vcc_lo
	v_cmp_le_u32_e32 vcc_lo, s13, v7
	v_cndmask_b32_e64 v11, 0, -1, s2
	v_cmp_le_u32_e64 s2, s12, v9
	v_cndmask_b32_e64 v15, 0, -1, vcc_lo
	v_cmp_eq_u32_e32 vcc_lo, s13, v10
	s_delay_alu instid0(VALU_DEP_3) | instskip(SKIP_1) | instid1(VALU_DEP_1)
	v_cndmask_b32_e64 v13, 0, -1, s2
	v_cmp_le_u32_e64 s2, s13, v10
	v_cndmask_b32_e64 v14, 0, -1, s2
	v_cmp_eq_u32_e64 s2, s13, v7
	s_delay_alu instid0(VALU_DEP_2) | instskip(SKIP_2) | instid1(VALU_DEP_3)
	v_cndmask_b32_e32 v13, v14, v13, vcc_lo
	v_sub_co_u32 v14, vcc_lo, v9, s12
	v_subrev_co_ci_u32_e32 v8, vcc_lo, 0, v8, vcc_lo
	v_cmp_ne_u32_e32 vcc_lo, 0, v13
	v_cndmask_b32_e64 v11, v15, v11, s2
	s_delay_alu instid0(VALU_DEP_3) | instskip(NEXT) | instid1(VALU_DEP_2)
	v_dual_cndmask_b32 v9, v9, v14 :: v_dual_cndmask_b32 v8, v10, v8
	v_cmp_ne_u32_e32 vcc_lo, 0, v11
	s_delay_alu instid0(VALU_DEP_2) | instskip(NEXT) | instid1(VALU_DEP_1)
	v_dual_cndmask_b32 v6, v6, v9 :: v_dual_cndmask_b32 v7, v7, v8
                                        ; implicit-def: $vgpr8_vgpr9
	v_xor_b32_e32 v6, v6, v16
	s_delay_alu instid0(VALU_DEP_2) | instskip(NEXT) | instid1(VALU_DEP_2)
	v_xor_b32_e32 v7, v7, v16
	v_sub_co_u32 v6, vcc_lo, v6, v16
	s_delay_alu instid0(VALU_DEP_2)
	v_sub_co_ci_u32_e32 v7, vcc_lo, v7, v16, vcc_lo
.LBB0_15:
	s_and_not1_saveexec_b32 s2, s3
	s_cbranch_execz .LBB0_17
; %bb.16:
	v_cvt_f32_u32_e32 v6, s8
	s_sub_i32 s3, 0, s8
	s_delay_alu instid0(VALU_DEP_1) | instskip(SKIP_2) | instid1(VALU_DEP_1)
	v_rcp_iflag_f32_e32 v6, v6
	s_waitcnt_depctr 0xfff
	v_mul_f32_e32 v6, 0x4f7ffffe, v6
	v_cvt_u32_f32_e32 v6, v6
	s_delay_alu instid0(VALU_DEP_1) | instskip(NEXT) | instid1(VALU_DEP_1)
	v_mul_lo_u32 v7, s3, v6
	v_mul_hi_u32 v7, v6, v7
	s_delay_alu instid0(VALU_DEP_1) | instskip(NEXT) | instid1(VALU_DEP_1)
	v_add_nc_u32_e32 v6, v6, v7
	v_mul_hi_u32 v6, v8, v6
	s_delay_alu instid0(VALU_DEP_1) | instskip(NEXT) | instid1(VALU_DEP_1)
	v_mul_lo_u32 v6, v6, s8
	v_sub_nc_u32_e32 v6, v8, v6
	s_delay_alu instid0(VALU_DEP_1) | instskip(SKIP_1) | instid1(VALU_DEP_2)
	v_subrev_nc_u32_e32 v7, s8, v6
	v_cmp_le_u32_e32 vcc_lo, s8, v6
	v_cndmask_b32_e32 v6, v6, v7, vcc_lo
	s_delay_alu instid0(VALU_DEP_1) | instskip(SKIP_1) | instid1(VALU_DEP_2)
	v_subrev_nc_u32_e32 v7, s8, v6
	v_cmp_le_u32_e32 vcc_lo, s8, v6
	v_dual_cndmask_b32 v6, v6, v7 :: v_dual_mov_b32 v7, 0
.LBB0_17:
	s_or_b32 exec_lo, exec_lo, s2
	v_or_b32_e32 v9, s19, v3
	v_mov_b32_e32 v8, 0
                                        ; implicit-def: $vgpr10_vgpr11
	s_mov_b32 s2, exec_lo
	s_delay_alu instid0(VALU_DEP_1)
	v_cmpx_ne_u64_e32 0, v[8:9]
	s_xor_b32 s3, exec_lo, s2
	s_cbranch_execz .LBB0_19
; %bb.18:
	s_ashr_i32 s12, s19, 31
	s_delay_alu instid0(SALU_CYCLE_1) | instskip(SKIP_2) | instid1(SALU_CYCLE_1)
	s_add_u32 s14, s18, s12
	s_mov_b32 s13, s12
	s_addc_u32 s15, s19, s12
	s_xor_b64 s[14:15], s[14:15], s[12:13]
	s_delay_alu instid0(SALU_CYCLE_1) | instskip(SKIP_3) | instid1(VALU_DEP_1)
	v_cvt_f32_u32_e32 v8, s14
	v_cvt_f32_u32_e32 v9, s15
	s_sub_u32 s2, 0, s14
	s_subb_u32 s13, 0, s15
	v_fmamk_f32 v8, v9, 0x4f800000, v8
	s_delay_alu instid0(VALU_DEP_1) | instskip(SKIP_2) | instid1(VALU_DEP_1)
	v_rcp_f32_e32 v8, v8
	s_waitcnt_depctr 0xfff
	v_mul_f32_e32 v8, 0x5f7ffffc, v8
	v_mul_f32_e32 v9, 0x2f800000, v8
	s_delay_alu instid0(VALU_DEP_1) | instskip(NEXT) | instid1(VALU_DEP_1)
	v_trunc_f32_e32 v9, v9
	v_fmamk_f32 v8, v9, 0xcf800000, v8
	v_cvt_u32_f32_e32 v9, v9
	s_delay_alu instid0(VALU_DEP_2) | instskip(NEXT) | instid1(VALU_DEP_2)
	v_cvt_u32_f32_e32 v8, v8
	v_mul_lo_u32 v10, s2, v9
	s_delay_alu instid0(VALU_DEP_2) | instskip(SKIP_1) | instid1(VALU_DEP_2)
	v_mul_hi_u32 v11, s2, v8
	v_mul_lo_u32 v13, s13, v8
	v_add_nc_u32_e32 v10, v11, v10
	v_mul_lo_u32 v11, s2, v8
	s_delay_alu instid0(VALU_DEP_2) | instskip(NEXT) | instid1(VALU_DEP_2)
	v_add_nc_u32_e32 v10, v10, v13
	v_mul_hi_u32 v13, v8, v11
	s_delay_alu instid0(VALU_DEP_2)
	v_mul_lo_u32 v14, v8, v10
	v_mul_hi_u32 v15, v8, v10
	v_mul_hi_u32 v16, v9, v11
	v_mul_lo_u32 v11, v9, v11
	v_mul_hi_u32 v17, v9, v10
	v_mul_lo_u32 v10, v9, v10
	v_add_co_u32 v13, vcc_lo, v13, v14
	v_add_co_ci_u32_e32 v14, vcc_lo, 0, v15, vcc_lo
	s_delay_alu instid0(VALU_DEP_2) | instskip(NEXT) | instid1(VALU_DEP_2)
	v_add_co_u32 v11, vcc_lo, v13, v11
	v_add_co_ci_u32_e32 v11, vcc_lo, v14, v16, vcc_lo
	v_add_co_ci_u32_e32 v13, vcc_lo, 0, v17, vcc_lo
	s_delay_alu instid0(VALU_DEP_2) | instskip(NEXT) | instid1(VALU_DEP_2)
	v_add_co_u32 v10, vcc_lo, v11, v10
	v_add_co_ci_u32_e32 v11, vcc_lo, 0, v13, vcc_lo
	s_delay_alu instid0(VALU_DEP_2) | instskip(NEXT) | instid1(VALU_DEP_2)
	v_add_co_u32 v8, vcc_lo, v8, v10
	v_add_co_ci_u32_e32 v9, vcc_lo, v9, v11, vcc_lo
	s_delay_alu instid0(VALU_DEP_2) | instskip(SKIP_1) | instid1(VALU_DEP_3)
	v_mul_hi_u32 v10, s2, v8
	v_mul_lo_u32 v13, s13, v8
	v_mul_lo_u32 v11, s2, v9
	s_delay_alu instid0(VALU_DEP_1) | instskip(SKIP_1) | instid1(VALU_DEP_2)
	v_add_nc_u32_e32 v10, v10, v11
	v_mul_lo_u32 v11, s2, v8
	v_add_nc_u32_e32 v10, v10, v13
	s_delay_alu instid0(VALU_DEP_2) | instskip(NEXT) | instid1(VALU_DEP_2)
	v_mul_hi_u32 v13, v8, v11
	v_mul_lo_u32 v14, v8, v10
	v_mul_hi_u32 v15, v8, v10
	v_mul_hi_u32 v16, v9, v11
	v_mul_lo_u32 v11, v9, v11
	v_mul_hi_u32 v17, v9, v10
	v_mul_lo_u32 v10, v9, v10
	v_add_co_u32 v13, vcc_lo, v13, v14
	v_add_co_ci_u32_e32 v14, vcc_lo, 0, v15, vcc_lo
	s_delay_alu instid0(VALU_DEP_2) | instskip(NEXT) | instid1(VALU_DEP_2)
	v_add_co_u32 v11, vcc_lo, v13, v11
	v_add_co_ci_u32_e32 v11, vcc_lo, v14, v16, vcc_lo
	v_add_co_ci_u32_e32 v13, vcc_lo, 0, v17, vcc_lo
	v_add_co_u32 v14, vcc_lo, v2, v12
	v_add_co_ci_u32_e32 v15, vcc_lo, v3, v12, vcc_lo
	s_delay_alu instid0(VALU_DEP_4) | instskip(NEXT) | instid1(VALU_DEP_4)
	v_add_co_u32 v10, vcc_lo, v11, v10
	v_add_co_ci_u32_e32 v11, vcc_lo, 0, v13, vcc_lo
	s_delay_alu instid0(VALU_DEP_4) | instskip(NEXT) | instid1(VALU_DEP_3)
	v_xor_b32_e32 v16, v14, v12
	v_add_co_u32 v13, vcc_lo, v8, v10
	s_delay_alu instid0(VALU_DEP_3) | instskip(SKIP_1) | instid1(VALU_DEP_3)
	v_add_co_ci_u32_e32 v17, vcc_lo, v9, v11, vcc_lo
	v_xor_b32_e32 v15, v15, v12
	v_mul_hi_u32 v18, v16, v13
	s_delay_alu instid0(VALU_DEP_3) | instskip(NEXT) | instid1(VALU_DEP_3)
	v_mad_u64_u32 v[8:9], null, v16, v17, 0
	v_mad_u64_u32 v[10:11], null, v15, v13, 0
	;; [unrolled: 1-line block ×3, first 2 shown]
	s_delay_alu instid0(VALU_DEP_3) | instskip(NEXT) | instid1(VALU_DEP_4)
	v_add_co_u32 v8, vcc_lo, v18, v8
	v_add_co_ci_u32_e32 v9, vcc_lo, 0, v9, vcc_lo
	s_delay_alu instid0(VALU_DEP_2) | instskip(NEXT) | instid1(VALU_DEP_2)
	v_add_co_u32 v8, vcc_lo, v8, v10
	v_add_co_ci_u32_e32 v8, vcc_lo, v9, v11, vcc_lo
	v_add_co_ci_u32_e32 v9, vcc_lo, 0, v14, vcc_lo
	s_delay_alu instid0(VALU_DEP_2) | instskip(NEXT) | instid1(VALU_DEP_2)
	v_add_co_u32 v10, vcc_lo, v8, v13
	v_add_co_ci_u32_e32 v11, vcc_lo, 0, v9, vcc_lo
	s_delay_alu instid0(VALU_DEP_2) | instskip(SKIP_1) | instid1(VALU_DEP_3)
	v_mul_lo_u32 v13, s15, v10
	v_mad_u64_u32 v[8:9], null, s14, v10, 0
	v_mul_lo_u32 v14, s14, v11
	s_delay_alu instid0(VALU_DEP_2) | instskip(NEXT) | instid1(VALU_DEP_2)
	v_sub_co_u32 v8, vcc_lo, v16, v8
	v_add3_u32 v9, v9, v14, v13
	s_delay_alu instid0(VALU_DEP_1) | instskip(NEXT) | instid1(VALU_DEP_1)
	v_sub_nc_u32_e32 v13, v15, v9
	v_subrev_co_ci_u32_e64 v13, s2, s15, v13, vcc_lo
	v_add_co_u32 v14, s2, v10, 2
	s_delay_alu instid0(VALU_DEP_1) | instskip(SKIP_3) | instid1(VALU_DEP_3)
	v_add_co_ci_u32_e64 v16, s2, 0, v11, s2
	v_sub_co_u32 v17, s2, v8, s14
	v_sub_co_ci_u32_e32 v9, vcc_lo, v15, v9, vcc_lo
	v_subrev_co_ci_u32_e64 v13, s2, 0, v13, s2
	v_cmp_le_u32_e32 vcc_lo, s14, v17
	s_delay_alu instid0(VALU_DEP_3) | instskip(SKIP_1) | instid1(VALU_DEP_4)
	v_cmp_eq_u32_e64 s2, s15, v9
	v_cndmask_b32_e64 v15, 0, -1, vcc_lo
	v_cmp_le_u32_e32 vcc_lo, s15, v13
	v_cndmask_b32_e64 v17, 0, -1, vcc_lo
	v_cmp_le_u32_e32 vcc_lo, s14, v8
	;; [unrolled: 2-line block ×3, first 2 shown]
	v_cndmask_b32_e64 v18, 0, -1, vcc_lo
	v_cmp_eq_u32_e32 vcc_lo, s15, v13
	s_delay_alu instid0(VALU_DEP_2) | instskip(SKIP_3) | instid1(VALU_DEP_3)
	v_cndmask_b32_e64 v8, v18, v8, s2
	v_cndmask_b32_e32 v13, v17, v15, vcc_lo
	v_add_co_u32 v15, vcc_lo, v10, 1
	v_add_co_ci_u32_e32 v17, vcc_lo, 0, v11, vcc_lo
	v_cmp_ne_u32_e32 vcc_lo, 0, v13
	s_delay_alu instid0(VALU_DEP_2) | instskip(NEXT) | instid1(VALU_DEP_4)
	v_cndmask_b32_e32 v9, v17, v16, vcc_lo
	v_cndmask_b32_e32 v13, v15, v14, vcc_lo
	v_cmp_ne_u32_e32 vcc_lo, 0, v8
	v_xor_b32_e32 v8, s12, v12
	s_delay_alu instid0(VALU_DEP_3) | instskip(SKIP_1) | instid1(VALU_DEP_2)
	v_cndmask_b32_e32 v10, v10, v13, vcc_lo
	v_cndmask_b32_e32 v9, v11, v9, vcc_lo
	v_xor_b32_e32 v10, v10, v8
	s_delay_alu instid0(VALU_DEP_2) | instskip(NEXT) | instid1(VALU_DEP_2)
	v_xor_b32_e32 v9, v9, v8
	v_sub_co_u32 v10, vcc_lo, v10, v8
	s_delay_alu instid0(VALU_DEP_2)
	v_sub_co_ci_u32_e32 v11, vcc_lo, v9, v8, vcc_lo
.LBB0_19:
	s_and_not1_saveexec_b32 s2, s3
	s_cbranch_execz .LBB0_21
; %bb.20:
	v_cvt_f32_u32_e32 v8, s18
	s_sub_i32 s3, 0, s18
	s_delay_alu instid0(VALU_DEP_1) | instskip(SKIP_2) | instid1(VALU_DEP_1)
	v_rcp_iflag_f32_e32 v8, v8
	s_waitcnt_depctr 0xfff
	v_mul_f32_e32 v8, 0x4f7ffffe, v8
	v_cvt_u32_f32_e32 v8, v8
	s_delay_alu instid0(VALU_DEP_1) | instskip(NEXT) | instid1(VALU_DEP_1)
	v_mul_lo_u32 v9, s3, v8
	v_mul_hi_u32 v9, v8, v9
	s_delay_alu instid0(VALU_DEP_1) | instskip(NEXT) | instid1(VALU_DEP_1)
	v_add_nc_u32_e32 v8, v8, v9
	v_mul_hi_u32 v8, v2, v8
	s_delay_alu instid0(VALU_DEP_1) | instskip(SKIP_1) | instid1(VALU_DEP_2)
	v_mul_lo_u32 v9, v8, s18
	v_add_nc_u32_e32 v10, 1, v8
	v_sub_nc_u32_e32 v9, v2, v9
	s_delay_alu instid0(VALU_DEP_1) | instskip(SKIP_1) | instid1(VALU_DEP_2)
	v_subrev_nc_u32_e32 v11, s18, v9
	v_cmp_le_u32_e32 vcc_lo, s18, v9
	v_cndmask_b32_e32 v9, v9, v11, vcc_lo
	v_dual_mov_b32 v11, 0 :: v_dual_cndmask_b32 v8, v8, v10
	s_delay_alu instid0(VALU_DEP_2) | instskip(NEXT) | instid1(VALU_DEP_2)
	v_cmp_le_u32_e32 vcc_lo, s18, v9
	v_add_nc_u32_e32 v10, 1, v8
	s_delay_alu instid0(VALU_DEP_1)
	v_cndmask_b32_e32 v10, v8, v10, vcc_lo
.LBB0_21:
	s_or_b32 exec_lo, exec_lo, s2
	s_delay_alu instid0(VALU_DEP_1) | instskip(SKIP_1) | instid1(VALU_DEP_1)
	v_or_b32_e32 v9, s11, v11
	v_mov_b32_e32 v8, 0
	v_cmp_ne_u64_e32 vcc_lo, 0, v[8:9]
                                        ; implicit-def: $vgpr8_vgpr9
	s_and_saveexec_b32 s2, vcc_lo
	s_delay_alu instid0(SALU_CYCLE_1)
	s_xor_b32 s3, exec_lo, s2
	s_cbranch_execz .LBB0_23
; %bb.22:
	s_ashr_i32 s12, s11, 31
	s_delay_alu instid0(SALU_CYCLE_1) | instskip(SKIP_2) | instid1(SALU_CYCLE_1)
	s_add_u32 s14, s10, s12
	s_mov_b32 s13, s12
	s_addc_u32 s15, s11, s12
	s_xor_b64 s[12:13], s[14:15], s[12:13]
	s_delay_alu instid0(SALU_CYCLE_1) | instskip(SKIP_3) | instid1(VALU_DEP_1)
	v_cvt_f32_u32_e32 v8, s12
	v_cvt_f32_u32_e32 v9, s13
	s_sub_u32 s2, 0, s12
	s_subb_u32 s14, 0, s13
	v_fmamk_f32 v8, v9, 0x4f800000, v8
	s_delay_alu instid0(VALU_DEP_1) | instskip(SKIP_2) | instid1(VALU_DEP_1)
	v_rcp_f32_e32 v8, v8
	s_waitcnt_depctr 0xfff
	v_mul_f32_e32 v8, 0x5f7ffffc, v8
	v_mul_f32_e32 v9, 0x2f800000, v8
	s_delay_alu instid0(VALU_DEP_1) | instskip(NEXT) | instid1(VALU_DEP_1)
	v_trunc_f32_e32 v9, v9
	v_fmamk_f32 v8, v9, 0xcf800000, v8
	v_cvt_u32_f32_e32 v9, v9
	s_delay_alu instid0(VALU_DEP_2) | instskip(NEXT) | instid1(VALU_DEP_2)
	v_cvt_u32_f32_e32 v8, v8
	v_mul_lo_u32 v12, s2, v9
	s_delay_alu instid0(VALU_DEP_2) | instskip(SKIP_1) | instid1(VALU_DEP_2)
	v_mul_hi_u32 v13, s2, v8
	v_mul_lo_u32 v14, s14, v8
	v_add_nc_u32_e32 v12, v13, v12
	v_mul_lo_u32 v13, s2, v8
	s_delay_alu instid0(VALU_DEP_2) | instskip(NEXT) | instid1(VALU_DEP_2)
	v_add_nc_u32_e32 v12, v12, v14
	v_mul_hi_u32 v14, v8, v13
	s_delay_alu instid0(VALU_DEP_2)
	v_mul_lo_u32 v15, v8, v12
	v_mul_hi_u32 v16, v8, v12
	v_mul_hi_u32 v17, v9, v13
	v_mul_lo_u32 v13, v9, v13
	v_mul_hi_u32 v18, v9, v12
	v_mul_lo_u32 v12, v9, v12
	v_add_co_u32 v14, vcc_lo, v14, v15
	v_add_co_ci_u32_e32 v15, vcc_lo, 0, v16, vcc_lo
	s_delay_alu instid0(VALU_DEP_2) | instskip(NEXT) | instid1(VALU_DEP_2)
	v_add_co_u32 v13, vcc_lo, v14, v13
	v_add_co_ci_u32_e32 v13, vcc_lo, v15, v17, vcc_lo
	v_add_co_ci_u32_e32 v14, vcc_lo, 0, v18, vcc_lo
	v_ashrrev_i32_e32 v17, 31, v11
	s_delay_alu instid0(VALU_DEP_3) | instskip(NEXT) | instid1(VALU_DEP_3)
	v_add_co_u32 v12, vcc_lo, v13, v12
	v_add_co_ci_u32_e32 v13, vcc_lo, 0, v14, vcc_lo
	s_delay_alu instid0(VALU_DEP_2) | instskip(NEXT) | instid1(VALU_DEP_2)
	v_add_co_u32 v8, vcc_lo, v8, v12
	v_add_co_ci_u32_e32 v9, vcc_lo, v9, v13, vcc_lo
	s_delay_alu instid0(VALU_DEP_2) | instskip(SKIP_1) | instid1(VALU_DEP_3)
	v_mul_hi_u32 v12, s2, v8
	v_mul_lo_u32 v14, s14, v8
	v_mul_lo_u32 v13, s2, v9
	s_delay_alu instid0(VALU_DEP_1) | instskip(SKIP_1) | instid1(VALU_DEP_2)
	v_add_nc_u32_e32 v12, v12, v13
	v_mul_lo_u32 v13, s2, v8
	v_add_nc_u32_e32 v12, v12, v14
	s_delay_alu instid0(VALU_DEP_2) | instskip(NEXT) | instid1(VALU_DEP_2)
	v_mul_hi_u32 v14, v8, v13
	v_mul_lo_u32 v15, v8, v12
	v_mul_hi_u32 v16, v8, v12
	v_mul_hi_u32 v18, v9, v13
	v_mul_lo_u32 v13, v9, v13
	v_mul_hi_u32 v19, v9, v12
	v_mul_lo_u32 v12, v9, v12
	v_add_co_u32 v14, vcc_lo, v14, v15
	v_add_co_ci_u32_e32 v15, vcc_lo, 0, v16, vcc_lo
	s_delay_alu instid0(VALU_DEP_2) | instskip(NEXT) | instid1(VALU_DEP_2)
	v_add_co_u32 v13, vcc_lo, v14, v13
	v_add_co_ci_u32_e32 v13, vcc_lo, v15, v18, vcc_lo
	v_add_co_ci_u32_e32 v14, vcc_lo, 0, v19, vcc_lo
	v_add_co_u32 v10, vcc_lo, v10, v17
	v_add_co_ci_u32_e32 v11, vcc_lo, v11, v17, vcc_lo
	s_delay_alu instid0(VALU_DEP_4) | instskip(NEXT) | instid1(VALU_DEP_4)
	v_add_co_u32 v12, vcc_lo, v13, v12
	v_add_co_ci_u32_e32 v13, vcc_lo, 0, v14, vcc_lo
	s_delay_alu instid0(VALU_DEP_4) | instskip(NEXT) | instid1(VALU_DEP_3)
	v_xor_b32_e32 v14, v10, v17
	v_add_co_u32 v12, vcc_lo, v8, v12
	s_delay_alu instid0(VALU_DEP_3) | instskip(SKIP_1) | instid1(VALU_DEP_3)
	v_add_co_ci_u32_e32 v15, vcc_lo, v9, v13, vcc_lo
	v_xor_b32_e32 v16, v11, v17
	v_mul_hi_u32 v18, v14, v12
	s_delay_alu instid0(VALU_DEP_3) | instskip(NEXT) | instid1(VALU_DEP_3)
	v_mad_u64_u32 v[8:9], null, v14, v15, 0
	v_mad_u64_u32 v[10:11], null, v16, v12, 0
	;; [unrolled: 1-line block ×3, first 2 shown]
	s_delay_alu instid0(VALU_DEP_3) | instskip(NEXT) | instid1(VALU_DEP_4)
	v_add_co_u32 v8, vcc_lo, v18, v8
	v_add_co_ci_u32_e32 v9, vcc_lo, 0, v9, vcc_lo
	s_delay_alu instid0(VALU_DEP_2) | instskip(NEXT) | instid1(VALU_DEP_2)
	v_add_co_u32 v8, vcc_lo, v8, v10
	v_add_co_ci_u32_e32 v8, vcc_lo, v9, v11, vcc_lo
	v_add_co_ci_u32_e32 v9, vcc_lo, 0, v13, vcc_lo
	s_delay_alu instid0(VALU_DEP_2) | instskip(NEXT) | instid1(VALU_DEP_2)
	v_add_co_u32 v10, vcc_lo, v8, v12
	v_add_co_ci_u32_e32 v11, vcc_lo, 0, v9, vcc_lo
	s_delay_alu instid0(VALU_DEP_2) | instskip(SKIP_1) | instid1(VALU_DEP_3)
	v_mul_lo_u32 v12, s13, v10
	v_mad_u64_u32 v[8:9], null, s12, v10, 0
	v_mul_lo_u32 v10, s12, v11
	s_delay_alu instid0(VALU_DEP_2) | instskip(NEXT) | instid1(VALU_DEP_2)
	v_sub_co_u32 v8, vcc_lo, v14, v8
	v_add3_u32 v9, v9, v10, v12
	s_delay_alu instid0(VALU_DEP_1) | instskip(NEXT) | instid1(VALU_DEP_1)
	v_sub_nc_u32_e32 v10, v16, v9
	v_subrev_co_ci_u32_e64 v10, s2, s13, v10, vcc_lo
	v_sub_co_ci_u32_e32 v9, vcc_lo, v16, v9, vcc_lo
	v_sub_co_u32 v11, vcc_lo, v8, s12
	s_delay_alu instid0(VALU_DEP_1) | instskip(SKIP_3) | instid1(VALU_DEP_3)
	v_subrev_co_ci_u32_e64 v12, s2, 0, v10, vcc_lo
	v_cmp_le_u32_e64 s2, s12, v8
	v_subrev_co_ci_u32_e32 v10, vcc_lo, s13, v10, vcc_lo
	v_cmp_le_u32_e32 vcc_lo, s13, v9
	v_cndmask_b32_e64 v13, 0, -1, s2
	v_cmp_le_u32_e64 s2, s12, v11
	v_cndmask_b32_e64 v16, 0, -1, vcc_lo
	v_cmp_eq_u32_e32 vcc_lo, s13, v12
	s_delay_alu instid0(VALU_DEP_3) | instskip(SKIP_1) | instid1(VALU_DEP_1)
	v_cndmask_b32_e64 v14, 0, -1, s2
	v_cmp_le_u32_e64 s2, s13, v12
	v_cndmask_b32_e64 v15, 0, -1, s2
	v_cmp_eq_u32_e64 s2, s13, v9
	s_delay_alu instid0(VALU_DEP_2) | instskip(SKIP_2) | instid1(VALU_DEP_3)
	v_cndmask_b32_e32 v14, v15, v14, vcc_lo
	v_sub_co_u32 v15, vcc_lo, v11, s12
	v_subrev_co_ci_u32_e32 v10, vcc_lo, 0, v10, vcc_lo
	v_cmp_ne_u32_e32 vcc_lo, 0, v14
	v_cndmask_b32_e64 v13, v16, v13, s2
	s_delay_alu instid0(VALU_DEP_3) | instskip(NEXT) | instid1(VALU_DEP_2)
	v_dual_cndmask_b32 v10, v12, v10 :: v_dual_cndmask_b32 v11, v11, v15
	v_cmp_ne_u32_e32 vcc_lo, 0, v13
	s_delay_alu instid0(VALU_DEP_2) | instskip(NEXT) | instid1(VALU_DEP_1)
	v_dual_cndmask_b32 v8, v8, v11 :: v_dual_cndmask_b32 v9, v9, v10
                                        ; implicit-def: $vgpr10_vgpr11
	v_xor_b32_e32 v8, v8, v17
	s_delay_alu instid0(VALU_DEP_2) | instskip(NEXT) | instid1(VALU_DEP_2)
	v_xor_b32_e32 v9, v9, v17
	v_sub_co_u32 v8, vcc_lo, v8, v17
	s_delay_alu instid0(VALU_DEP_2)
	v_sub_co_ci_u32_e32 v9, vcc_lo, v9, v17, vcc_lo
.LBB0_23:
	s_and_not1_saveexec_b32 s2, s3
	s_cbranch_execz .LBB0_25
; %bb.24:
	v_cvt_f32_u32_e32 v8, s10
	s_sub_i32 s3, 0, s10
	s_delay_alu instid0(VALU_DEP_1) | instskip(SKIP_2) | instid1(VALU_DEP_1)
	v_rcp_iflag_f32_e32 v8, v8
	s_waitcnt_depctr 0xfff
	v_mul_f32_e32 v8, 0x4f7ffffe, v8
	v_cvt_u32_f32_e32 v8, v8
	s_delay_alu instid0(VALU_DEP_1) | instskip(NEXT) | instid1(VALU_DEP_1)
	v_mul_lo_u32 v9, s3, v8
	v_mul_hi_u32 v9, v8, v9
	s_delay_alu instid0(VALU_DEP_1) | instskip(NEXT) | instid1(VALU_DEP_1)
	v_add_nc_u32_e32 v8, v8, v9
	v_mul_hi_u32 v8, v10, v8
	s_delay_alu instid0(VALU_DEP_1) | instskip(NEXT) | instid1(VALU_DEP_1)
	v_mul_lo_u32 v8, v8, s10
	v_sub_nc_u32_e32 v8, v10, v8
	s_delay_alu instid0(VALU_DEP_1) | instskip(SKIP_1) | instid1(VALU_DEP_2)
	v_subrev_nc_u32_e32 v9, s10, v8
	v_cmp_le_u32_e32 vcc_lo, s10, v8
	v_cndmask_b32_e32 v8, v8, v9, vcc_lo
	s_delay_alu instid0(VALU_DEP_1) | instskip(SKIP_1) | instid1(VALU_DEP_2)
	v_subrev_nc_u32_e32 v9, s10, v8
	v_cmp_le_u32_e32 vcc_lo, s10, v8
	v_dual_cndmask_b32 v8, v8, v9 :: v_dual_mov_b32 v9, 0
.LBB0_25:
	s_or_b32 exec_lo, exec_lo, s2
	s_load_b128 s[12:15], s[0:1], 0x30
	v_mul_lo_u32 v5, v5, s4
	v_mul_lo_u32 v12, v4, s5
	v_mad_u64_u32 v[10:11], null, v4, s4, 0
	s_delay_alu instid0(VALU_DEP_1) | instskip(NEXT) | instid1(VALU_DEP_2)
	v_add3_u32 v4, v11, v12, v5
	v_sub_co_u32 v2, vcc_lo, v2, v10
	s_delay_alu instid0(VALU_DEP_2) | instskip(SKIP_2) | instid1(VALU_DEP_2)
	v_sub_co_ci_u32_e32 v3, vcc_lo, v3, v4, vcc_lo
                                        ; implicit-def: $vgpr4_vgpr5
	s_waitcnt lgkmcnt(0)
	s_ashr_i32 s2, s12, 31
	v_sub_co_u32 v10, vcc_lo, v2, s12
	s_delay_alu instid0(VALU_DEP_2) | instskip(SKIP_1) | instid1(VALU_DEP_1)
	v_subrev_co_ci_u32_e32 v11, vcc_lo, s2, v3, vcc_lo
	s_mov_b32 s2, exec_lo
	v_cmpx_lt_i64_e32 -1, v[10:11]
	s_xor_b32 s2, exec_lo, s2
; %bb.26:
	v_cmp_le_i64_e32 vcc_lo, s[4:5], v[10:11]
	v_cndmask_b32_e64 v4, 0, s4, vcc_lo
	v_cndmask_b32_e64 v5, 0, s5, vcc_lo
	s_delay_alu instid0(VALU_DEP_2) | instskip(NEXT) | instid1(VALU_DEP_2)
	v_sub_co_u32 v4, vcc_lo, v10, v4
	v_sub_co_ci_u32_e32 v5, vcc_lo, v11, v5, vcc_lo
                                        ; implicit-def: $vgpr10
; %bb.27:
	s_and_not1_saveexec_b32 s2, s2
; %bb.28:
	v_add_co_u32 v4, vcc_lo, v10, s4
	v_add_co_ci_u32_e32 v5, vcc_lo, s5, v11, vcc_lo
; %bb.29:
	s_or_b32 exec_lo, exec_lo, s2
	s_ashr_i32 s2, s13, 31
	v_sub_co_u32 v12, vcc_lo, v0, s13
	v_subrev_co_ci_u32_e32 v13, vcc_lo, s2, v1, vcc_lo
	s_mov_b32 s2, exec_lo
                                        ; implicit-def: $vgpr10_vgpr11
	s_delay_alu instid0(VALU_DEP_1)
	v_cmpx_lt_i64_e32 -1, v[12:13]
	s_xor_b32 s2, exec_lo, s2
; %bb.30:
	v_cmp_le_i64_e32 vcc_lo, s[6:7], v[12:13]
	v_cndmask_b32_e64 v10, 0, s6, vcc_lo
	v_cndmask_b32_e64 v11, 0, s7, vcc_lo
	s_delay_alu instid0(VALU_DEP_2) | instskip(NEXT) | instid1(VALU_DEP_2)
	v_sub_co_u32 v10, vcc_lo, v12, v10
	v_sub_co_ci_u32_e32 v11, vcc_lo, v13, v11, vcc_lo
                                        ; implicit-def: $vgpr12
; %bb.31:
	s_and_not1_saveexec_b32 s2, s2
; %bb.32:
	v_add_co_u32 v10, vcc_lo, v12, s6
	v_add_co_ci_u32_e32 v11, vcc_lo, s7, v13, vcc_lo
; %bb.33:
	s_or_b32 exec_lo, exec_lo, s2
	s_ashr_i32 s2, s14, 31
	v_sub_co_u32 v14, vcc_lo, v6, s14
	v_subrev_co_ci_u32_e32 v15, vcc_lo, s2, v7, vcc_lo
	s_mov_b32 s2, exec_lo
                                        ; implicit-def: $vgpr12_vgpr13
	s_delay_alu instid0(VALU_DEP_1)
	v_cmpx_lt_i64_e32 -1, v[14:15]
	s_xor_b32 s2, exec_lo, s2
; %bb.34:
	v_cmp_le_i64_e32 vcc_lo, s[8:9], v[14:15]
	v_cndmask_b32_e64 v12, 0, s8, vcc_lo
	v_cndmask_b32_e64 v13, 0, s9, vcc_lo
	s_delay_alu instid0(VALU_DEP_2) | instskip(NEXT) | instid1(VALU_DEP_2)
	v_sub_co_u32 v12, vcc_lo, v14, v12
	v_sub_co_ci_u32_e32 v13, vcc_lo, v15, v13, vcc_lo
                                        ; implicit-def: $vgpr14
; %bb.35:
	s_and_not1_saveexec_b32 s2, s2
; %bb.36:
	v_add_co_u32 v12, vcc_lo, v14, s8
	v_add_co_ci_u32_e32 v13, vcc_lo, s9, v15, vcc_lo
; %bb.37:
	s_or_b32 exec_lo, exec_lo, s2
	s_load_b128 s[0:3], s[0:1], 0x0
	s_ashr_i32 s6, s15, 31
	v_sub_co_u32 v16, vcc_lo, v8, s15
	v_subrev_co_ci_u32_e32 v17, vcc_lo, s6, v9, vcc_lo
	s_mov_b32 s6, exec_lo
                                        ; implicit-def: $vgpr14_vgpr15
	s_delay_alu instid0(VALU_DEP_1)
	v_cmpx_lt_i64_e32 -1, v[16:17]
	s_xor_b32 s6, exec_lo, s6
; %bb.38:
	v_cmp_le_i64_e32 vcc_lo, s[10:11], v[16:17]
	v_cndmask_b32_e64 v14, 0, s10, vcc_lo
	v_cndmask_b32_e64 v15, 0, s11, vcc_lo
	s_delay_alu instid0(VALU_DEP_2) | instskip(NEXT) | instid1(VALU_DEP_2)
	v_sub_co_u32 v14, vcc_lo, v16, v14
	v_sub_co_ci_u32_e32 v15, vcc_lo, v17, v15, vcc_lo
                                        ; implicit-def: $vgpr16
; %bb.39:
	s_and_not1_saveexec_b32 s6, s6
; %bb.40:
	v_add_co_u32 v14, vcc_lo, v16, s10
	v_add_co_ci_u32_e32 v15, vcc_lo, s11, v17, vcc_lo
; %bb.41:
	s_or_b32 exec_lo, exec_lo, s6
	s_delay_alu instid0(VALU_DEP_1) | instskip(NEXT) | instid1(VALU_DEP_3)
	v_mul_lo_u32 v17, v15, s18
	v_mul_lo_u32 v18, v14, s19
	v_mad_u64_u32 v[15:16], null, v14, s18, 0
	v_mul_lo_u32 v19, v13, s16
	v_mul_lo_u32 v20, v12, s17
	v_mad_u64_u32 v[13:14], null, v12, s16, 0
	v_lshlrev_b64 v[4:5], 2, v[4:5]
	v_mul_lo_u32 v9, v9, s18
	v_add3_u32 v16, v16, v18, v17
	v_mul_lo_u32 v17, v11, s4
	v_mul_lo_u32 v18, v10, s5
	v_mad_u64_u32 v[11:12], null, v10, s4, 0
	v_add3_u32 v14, v14, v20, v19
	v_lshlrev_b64 v[15:16], 2, v[15:16]
	v_lshlrev_b64 v[2:3], 2, v[2:3]
	s_delay_alu instid0(VALU_DEP_3) | instskip(SKIP_2) | instid1(VALU_DEP_4)
	v_lshlrev_b64 v[13:14], 2, v[13:14]
	v_add3_u32 v12, v12, v18, v17
	s_waitcnt lgkmcnt(0)
	v_add_co_u32 v15, vcc_lo, s0, v15
	v_add_co_ci_u32_e32 v16, vcc_lo, s1, v16, vcc_lo
	s_delay_alu instid0(VALU_DEP_3) | instskip(NEXT) | instid1(VALU_DEP_3)
	v_lshlrev_b64 v[10:11], 2, v[11:12]
	v_add_co_u32 v12, vcc_lo, v15, v13
	s_delay_alu instid0(VALU_DEP_3) | instskip(SKIP_1) | instid1(VALU_DEP_3)
	v_add_co_ci_u32_e32 v13, vcc_lo, v16, v14, vcc_lo
	v_mul_lo_u32 v14, v0, s5
	v_add_co_u32 v10, vcc_lo, v12, v10
	s_delay_alu instid0(VALU_DEP_3) | instskip(SKIP_1) | instid1(VALU_DEP_3)
	v_add_co_ci_u32_e32 v11, vcc_lo, v13, v11, vcc_lo
	v_mul_lo_u32 v12, v7, s16
	v_add_co_u32 v4, vcc_lo, v10, v4
	s_delay_alu instid0(VALU_DEP_3)
	v_add_co_ci_u32_e32 v5, vcc_lo, v11, v5, vcc_lo
	v_mul_lo_u32 v10, v8, s19
	v_mul_lo_u32 v13, v6, s17
	global_load_b32 v11, v[4:5], off
	v_mad_u64_u32 v[4:5], null, v8, s18, 0
	v_mad_u64_u32 v[7:8], null, v6, s16, 0
	v_mul_lo_u32 v6, v1, s4
	s_delay_alu instid0(VALU_DEP_3) | instskip(SKIP_1) | instid1(VALU_DEP_4)
	v_add3_u32 v5, v5, v10, v9
	v_mad_u64_u32 v[9:10], null, v0, s4, 0
	v_add3_u32 v8, v8, v13, v12
	s_delay_alu instid0(VALU_DEP_3) | instskip(NEXT) | instid1(VALU_DEP_2)
	v_lshlrev_b64 v[0:1], 2, v[4:5]
	v_lshlrev_b64 v[4:5], 2, v[7:8]
	s_delay_alu instid0(VALU_DEP_4) | instskip(NEXT) | instid1(VALU_DEP_3)
	v_add3_u32 v10, v10, v14, v6
	v_add_co_u32 v6, vcc_lo, s2, v0
	s_delay_alu instid0(VALU_DEP_4) | instskip(NEXT) | instid1(VALU_DEP_3)
	v_add_co_ci_u32_e32 v7, vcc_lo, s3, v1, vcc_lo
	v_lshlrev_b64 v[0:1], 2, v[9:10]
	s_delay_alu instid0(VALU_DEP_3) | instskip(NEXT) | instid1(VALU_DEP_3)
	v_add_co_u32 v4, vcc_lo, v6, v4
	v_add_co_ci_u32_e32 v5, vcc_lo, v7, v5, vcc_lo
	s_delay_alu instid0(VALU_DEP_2) | instskip(NEXT) | instid1(VALU_DEP_2)
	v_add_co_u32 v0, vcc_lo, v4, v0
	v_add_co_ci_u32_e32 v1, vcc_lo, v5, v1, vcc_lo
	s_delay_alu instid0(VALU_DEP_2) | instskip(NEXT) | instid1(VALU_DEP_2)
	v_add_co_u32 v0, vcc_lo, v0, v2
	v_add_co_ci_u32_e32 v1, vcc_lo, v1, v3, vcc_lo
	s_waitcnt vmcnt(0)
	global_store_b32 v[0:1], v11, off
.LBB0_42:
	s_nop 0
	s_sendmsg sendmsg(MSG_DEALLOC_VGPRS)
	s_endpgm
	.section	.rodata,"a",@progbits
	.p2align	6, 0x0
	.amdhsa_kernel _ZL13roll_f32_cudaPKfPflllliiii
		.amdhsa_group_segment_fixed_size 0
		.amdhsa_private_segment_fixed_size 0
		.amdhsa_kernarg_size 320
		.amdhsa_user_sgpr_count 15
		.amdhsa_user_sgpr_dispatch_ptr 0
		.amdhsa_user_sgpr_queue_ptr 0
		.amdhsa_user_sgpr_kernarg_segment_ptr 1
		.amdhsa_user_sgpr_dispatch_id 0
		.amdhsa_user_sgpr_private_segment_size 0
		.amdhsa_wavefront_size32 1
		.amdhsa_uses_dynamic_stack 0
		.amdhsa_enable_private_segment 0
		.amdhsa_system_sgpr_workgroup_id_x 1
		.amdhsa_system_sgpr_workgroup_id_y 0
		.amdhsa_system_sgpr_workgroup_id_z 0
		.amdhsa_system_sgpr_workgroup_info 0
		.amdhsa_system_vgpr_workitem_id 0
		.amdhsa_next_free_vgpr 21
		.amdhsa_next_free_sgpr 20
		.amdhsa_reserve_vcc 1
		.amdhsa_float_round_mode_32 0
		.amdhsa_float_round_mode_16_64 0
		.amdhsa_float_denorm_mode_32 3
		.amdhsa_float_denorm_mode_16_64 3
		.amdhsa_dx10_clamp 1
		.amdhsa_ieee_mode 1
		.amdhsa_fp16_overflow 0
		.amdhsa_workgroup_processor_mode 1
		.amdhsa_memory_ordered 1
		.amdhsa_forward_progress 0
		.amdhsa_shared_vgpr_count 0
		.amdhsa_exception_fp_ieee_invalid_op 0
		.amdhsa_exception_fp_denorm_src 0
		.amdhsa_exception_fp_ieee_div_zero 0
		.amdhsa_exception_fp_ieee_overflow 0
		.amdhsa_exception_fp_ieee_underflow 0
		.amdhsa_exception_fp_ieee_inexact 0
		.amdhsa_exception_int_div_zero 0
	.end_amdhsa_kernel
	.section	.text._ZL13roll_f32_cudaPKfPflllliiii,"axG",@progbits,_ZL13roll_f32_cudaPKfPflllliiii,comdat
.Lfunc_end0:
	.size	_ZL13roll_f32_cudaPKfPflllliiii, .Lfunc_end0-_ZL13roll_f32_cudaPKfPflllliiii
                                        ; -- End function
	.section	.AMDGPU.csdata,"",@progbits
; Kernel info:
; codeLenInByte = 6952
; NumSgprs: 22
; NumVgprs: 21
; ScratchSize: 0
; MemoryBound: 0
; FloatMode: 240
; IeeeMode: 1
; LDSByteSize: 0 bytes/workgroup (compile time only)
; SGPRBlocks: 2
; VGPRBlocks: 2
; NumSGPRsForWavesPerEU: 22
; NumVGPRsForWavesPerEU: 21
; Occupancy: 16
; WaveLimiterHint : 0
; COMPUTE_PGM_RSRC2:SCRATCH_EN: 0
; COMPUTE_PGM_RSRC2:USER_SGPR: 15
; COMPUTE_PGM_RSRC2:TRAP_HANDLER: 0
; COMPUTE_PGM_RSRC2:TGID_X_EN: 1
; COMPUTE_PGM_RSRC2:TGID_Y_EN: 0
; COMPUTE_PGM_RSRC2:TGID_Z_EN: 0
; COMPUTE_PGM_RSRC2:TIDIG_COMP_CNT: 0
	.text
	.p2alignl 7, 3214868480
	.fill 96, 4, 3214868480
	.type	__hip_cuid_3ec555af87c72b48,@object ; @__hip_cuid_3ec555af87c72b48
	.section	.bss,"aw",@nobits
	.globl	__hip_cuid_3ec555af87c72b48
__hip_cuid_3ec555af87c72b48:
	.byte	0                               ; 0x0
	.size	__hip_cuid_3ec555af87c72b48, 1

	.ident	"AMD clang version 19.0.0git (https://github.com/RadeonOpenCompute/llvm-project roc-6.4.0 25133 c7fe45cf4b819c5991fe208aaa96edf142730f1d)"
	.section	".note.GNU-stack","",@progbits
	.addrsig
	.addrsig_sym __hip_cuid_3ec555af87c72b48
	.amdgpu_metadata
---
amdhsa.kernels:
  - .args:
      - .actual_access:  read_only
        .address_space:  global
        .offset:         0
        .size:           8
        .value_kind:     global_buffer
      - .actual_access:  write_only
        .address_space:  global
        .offset:         8
        .size:           8
        .value_kind:     global_buffer
      - .offset:         16
        .size:           8
        .value_kind:     by_value
      - .offset:         24
        .size:           8
        .value_kind:     by_value
      - .offset:         32
        .size:           8
        .value_kind:     by_value
      - .offset:         40
        .size:           8
        .value_kind:     by_value
      - .offset:         48
        .size:           4
        .value_kind:     by_value
      - .offset:         52
        .size:           4
        .value_kind:     by_value
      - .offset:         56
        .size:           4
        .value_kind:     by_value
      - .offset:         60
        .size:           4
        .value_kind:     by_value
      - .offset:         64
        .size:           4
        .value_kind:     hidden_block_count_x
      - .offset:         68
        .size:           4
        .value_kind:     hidden_block_count_y
      - .offset:         72
        .size:           4
        .value_kind:     hidden_block_count_z
      - .offset:         76
        .size:           2
        .value_kind:     hidden_group_size_x
      - .offset:         78
        .size:           2
        .value_kind:     hidden_group_size_y
      - .offset:         80
        .size:           2
        .value_kind:     hidden_group_size_z
      - .offset:         82
        .size:           2
        .value_kind:     hidden_remainder_x
      - .offset:         84
        .size:           2
        .value_kind:     hidden_remainder_y
      - .offset:         86
        .size:           2
        .value_kind:     hidden_remainder_z
      - .offset:         104
        .size:           8
        .value_kind:     hidden_global_offset_x
      - .offset:         112
        .size:           8
        .value_kind:     hidden_global_offset_y
      - .offset:         120
        .size:           8
        .value_kind:     hidden_global_offset_z
      - .offset:         128
        .size:           2
        .value_kind:     hidden_grid_dims
    .group_segment_fixed_size: 0
    .kernarg_segment_align: 8
    .kernarg_segment_size: 320
    .language:       OpenCL C
    .language_version:
      - 2
      - 0
    .max_flat_workgroup_size: 1024
    .name:           _ZL13roll_f32_cudaPKfPflllliiii
    .private_segment_fixed_size: 0
    .sgpr_count:     22
    .sgpr_spill_count: 0
    .symbol:         _ZL13roll_f32_cudaPKfPflllliiii.kd
    .uniform_work_group_size: 1
    .uses_dynamic_stack: false
    .vgpr_count:     21
    .vgpr_spill_count: 0
    .wavefront_size: 32
    .workgroup_processor_mode: 1
amdhsa.target:   amdgcn-amd-amdhsa--gfx1100
amdhsa.version:
  - 1
  - 2
...

	.end_amdgpu_metadata
